;; amdgpu-corpus repo=zjin-lcf/HeCBench kind=compiled arch=gfx1100 opt=O3
	.text
	.amdgcn_target "amdgcn-amd-amdhsa--gfx1100"
	.amdhsa_code_object_version 6
	.section	.text._Z9conv3d_s1IfEvPKT_S2_PS0_iiiiiiii,"axG",@progbits,_Z9conv3d_s1IfEvPKT_S2_PS0_iiiiiiii,comdat
	.protected	_Z9conv3d_s1IfEvPKT_S2_PS0_iiiiiiii ; -- Begin function _Z9conv3d_s1IfEvPKT_S2_PS0_iiiiiiii
	.globl	_Z9conv3d_s1IfEvPKT_S2_PS0_iiiiiiii
	.p2align	8
	.type	_Z9conv3d_s1IfEvPKT_S2_PS0_iiiiiiii,@function
_Z9conv3d_s1IfEvPKT_S2_PS0_iiiiiiii:    ; @_Z9conv3d_s1IfEvPKT_S2_PS0_iiiiiiii
; %bb.0:
	s_load_b256 s[4:11], s[0:1], 0x18
	v_bfe_u32 v3, v0, 10, 10
	v_and_b32_e32 v2, 0x3ff, v0
	s_waitcnt lgkmcnt(0)
	v_cvt_f32_u32_e32 v1, s11
	s_sub_i32 s3, 0, s11
	s_delay_alu instid0(VALU_DEP_1) | instskip(SKIP_2) | instid1(VALU_DEP_1)
	v_rcp_iflag_f32_e32 v1, v1
	s_waitcnt_depctr 0xfff
	v_mul_f32_e32 v1, 0x4f7ffffe, v1
	v_cvt_u32_f32_e32 v1, v1
	s_delay_alu instid0(VALU_DEP_1) | instskip(NEXT) | instid1(VALU_DEP_1)
	v_readfirstlane_b32 s2, v1
	s_mul_i32 s3, s3, s2
	s_delay_alu instid0(SALU_CYCLE_1) | instskip(NEXT) | instid1(SALU_CYCLE_1)
	s_mul_hi_u32 s3, s2, s3
	s_add_i32 s2, s2, s3
	s_delay_alu instid0(SALU_CYCLE_1) | instskip(NEXT) | instid1(SALU_CYCLE_1)
	s_mul_hi_u32 s2, s15, s2
	s_mul_i32 s3, s2, s11
	s_add_i32 s12, s2, 1
	s_sub_i32 s3, s15, s3
	s_delay_alu instid0(SALU_CYCLE_1)
	s_sub_i32 s16, s3, s11
	s_cmp_ge_u32 s3, s11
	s_cselect_b32 s2, s12, s2
	s_cselect_b32 s3, s16, s3
	s_add_i32 s12, s2, 1
	s_cmp_ge_u32 s3, s11
	s_cselect_b32 s2, s12, s2
	s_delay_alu instid0(SALU_CYCLE_1) | instskip(SKIP_4) | instid1(VALU_DEP_2)
	s_mul_i32 s18, s2, s11
	s_lshl_b32 s3, s2, 4
	s_sub_i32 s2, s15, s18
	v_add_nc_u32_e32 v1, s3, v3
	v_lshl_add_u32 v0, s2, 4, v2
	v_cmp_gt_i32_e32 vcc_lo, s9, v1
	s_delay_alu instid0(VALU_DEP_2) | instskip(NEXT) | instid1(VALU_DEP_1)
	v_cmp_gt_i32_e64 s2, s10, v0
	s_and_b32 s2, vcc_lo, s2
	s_delay_alu instid0(SALU_CYCLE_1)
	s_and_saveexec_b32 s11, s2
	s_cbranch_execz .LBB0_11
; %bb.1:
	s_load_b64 s[16:17], s[0:1], 0x10
	s_cmp_lt_i32 s4, 1
	s_cbranch_scc1 .LBB0_9
; %bb.2:
	s_mul_i32 s2, s13, s7
	s_cmp_gt_i32 s6, 0
	s_mul_i32 s2, s2, s4
	s_cselect_b32 s11, -1, 0
	v_add3_u32 v3, s3, s2, v3
	s_load_b128 s[0:3], s[0:1], 0x0
	s_lshl_b32 s12, s15, 4
	s_lshl_b32 s15, s18, 4
	v_mov_b32_e32 v5, 0
	v_mul_lo_u32 v3, s8, v3
	s_mul_i32 s7, s8, s7
	s_delay_alu instid0(VALU_DEP_1) | instskip(SKIP_1) | instid1(SALU_CYCLE_1)
	v_add3_u32 v2, v2, v3, s12
	s_mul_i32 s12, s6, s6
	s_mul_i32 s18, s14, s12
	s_delay_alu instid0(SALU_CYCLE_1) | instskip(NEXT) | instid1(VALU_DEP_1)
	s_mul_i32 s22, s18, s4
	v_subrev_nc_u32_e32 v6, s15, v2
	s_mov_b32 s15, 0
	s_set_inst_prefetch_distance 0x1
	s_branch .LBB0_4
	.p2align	6
.LBB0_3:                                ;   in Loop: Header=BB0_4 Depth=1
	v_add_nc_u32_e32 v6, s7, v6
	s_add_i32 s15, s15, 1
	s_add_i32 s22, s22, s12
	s_cmp_eq_u32 s15, s4
	s_cbranch_scc1 .LBB0_10
.LBB0_4:                                ; =>This Loop Header: Depth=1
                                        ;     Child Loop BB0_6 Depth 2
                                        ;       Child Loop BB0_7 Depth 3
	s_and_not1_b32 vcc_lo, exec_lo, s11
	s_cbranch_vccnz .LBB0_3
; %bb.5:                                ;   in Loop: Header=BB0_4 Depth=1
	v_mov_b32_e32 v2, v6
	s_mov_b32 s23, 0
	s_mov_b32 s18, s22
	.p2align	6
.LBB0_6:                                ;   Parent Loop BB0_4 Depth=1
                                        ; =>  This Loop Header: Depth=2
                                        ;       Child Loop BB0_7 Depth 3
	s_delay_alu instid0(VALU_DEP_1) | instskip(SKIP_1) | instid1(SALU_CYCLE_1)
	v_ashrrev_i32_e32 v3, 31, v2
	s_ashr_i32 s19, s18, 31
	s_lshl_b64 s[20:21], s[18:19], 2
	s_mov_b32 s19, s6
	s_delay_alu instid0(VALU_DEP_1) | instskip(SKIP_3) | instid1(VALU_DEP_1)
	v_lshlrev_b64 v[3:4], 2, v[2:3]
	s_waitcnt lgkmcnt(0)
	s_add_u32 s20, s2, s20
	s_addc_u32 s21, s3, s21
	v_add_co_u32 v3, vcc_lo, s0, v3
	s_delay_alu instid0(VALU_DEP_2)
	v_add_co_ci_u32_e32 v4, vcc_lo, s1, v4, vcc_lo
.LBB0_7:                                ;   Parent Loop BB0_4 Depth=1
                                        ;     Parent Loop BB0_6 Depth=2
                                        ; =>    This Inner Loop Header: Depth=3
	global_load_b32 v7, v[3:4], off
	s_load_b32 s24, s[20:21], 0x0
	v_add_co_u32 v3, vcc_lo, v3, 4
	s_add_i32 s19, s19, -1
	v_add_co_ci_u32_e32 v4, vcc_lo, 0, v4, vcc_lo
	s_add_u32 s20, s20, 4
	s_addc_u32 s21, s21, 0
	s_cmp_eq_u32 s19, 0
	s_waitcnt vmcnt(0) lgkmcnt(0)
	v_fmac_f32_e32 v5, s24, v7
	s_cbranch_scc0 .LBB0_7
; %bb.8:                                ;   in Loop: Header=BB0_6 Depth=2
	v_add_nc_u32_e32 v2, s8, v2
	s_add_i32 s23, s23, 1
	s_add_i32 s18, s18, s6
	s_cmp_eq_u32 s23, s6
	s_cbranch_scc0 .LBB0_6
	s_branch .LBB0_3
.LBB0_9:
	v_mov_b32_e32 v5, 0
.LBB0_10:
	s_set_inst_prefetch_distance 0x2
	s_waitcnt lgkmcnt(0)
	s_mul_i32 s0, s13, s5
	s_delay_alu instid0(SALU_CYCLE_1) | instskip(NEXT) | instid1(SALU_CYCLE_1)
	s_add_i32 s0, s0, s14
	v_mad_u64_u32 v[2:3], null, s0, s9, v[1:2]
	s_delay_alu instid0(VALU_DEP_1) | instskip(NEXT) | instid1(VALU_DEP_1)
	v_mad_u64_u32 v[3:4], null, v2, s10, v[0:1]
	v_ashrrev_i32_e32 v4, 31, v3
	s_delay_alu instid0(VALU_DEP_1) | instskip(NEXT) | instid1(VALU_DEP_1)
	v_lshlrev_b64 v[0:1], 2, v[3:4]
	v_add_co_u32 v0, vcc_lo, s16, v0
	s_delay_alu instid0(VALU_DEP_2)
	v_add_co_ci_u32_e32 v1, vcc_lo, s17, v1, vcc_lo
	global_store_b32 v[0:1], v5, off
.LBB0_11:
	s_nop 0
	s_sendmsg sendmsg(MSG_DEALLOC_VGPRS)
	s_endpgm
	.section	.rodata,"a",@progbits
	.p2align	6, 0x0
	.amdhsa_kernel _Z9conv3d_s1IfEvPKT_S2_PS0_iiiiiiii
		.amdhsa_group_segment_fixed_size 0
		.amdhsa_private_segment_fixed_size 0
		.amdhsa_kernarg_size 56
		.amdhsa_user_sgpr_count 13
		.amdhsa_user_sgpr_dispatch_ptr 0
		.amdhsa_user_sgpr_queue_ptr 0
		.amdhsa_user_sgpr_kernarg_segment_ptr 1
		.amdhsa_user_sgpr_dispatch_id 0
		.amdhsa_user_sgpr_private_segment_size 0
		.amdhsa_wavefront_size32 1
		.amdhsa_uses_dynamic_stack 0
		.amdhsa_enable_private_segment 0
		.amdhsa_system_sgpr_workgroup_id_x 1
		.amdhsa_system_sgpr_workgroup_id_y 1
		.amdhsa_system_sgpr_workgroup_id_z 1
		.amdhsa_system_sgpr_workgroup_info 0
		.amdhsa_system_vgpr_workitem_id 1
		.amdhsa_next_free_vgpr 8
		.amdhsa_next_free_sgpr 25
		.amdhsa_reserve_vcc 1
		.amdhsa_float_round_mode_32 0
		.amdhsa_float_round_mode_16_64 0
		.amdhsa_float_denorm_mode_32 3
		.amdhsa_float_denorm_mode_16_64 3
		.amdhsa_dx10_clamp 1
		.amdhsa_ieee_mode 1
		.amdhsa_fp16_overflow 0
		.amdhsa_workgroup_processor_mode 1
		.amdhsa_memory_ordered 1
		.amdhsa_forward_progress 0
		.amdhsa_shared_vgpr_count 0
		.amdhsa_exception_fp_ieee_invalid_op 0
		.amdhsa_exception_fp_denorm_src 0
		.amdhsa_exception_fp_ieee_div_zero 0
		.amdhsa_exception_fp_ieee_overflow 0
		.amdhsa_exception_fp_ieee_underflow 0
		.amdhsa_exception_fp_ieee_inexact 0
		.amdhsa_exception_int_div_zero 0
	.end_amdhsa_kernel
	.section	.text._Z9conv3d_s1IfEvPKT_S2_PS0_iiiiiiii,"axG",@progbits,_Z9conv3d_s1IfEvPKT_S2_PS0_iiiiiiii,comdat
.Lfunc_end0:
	.size	_Z9conv3d_s1IfEvPKT_S2_PS0_iiiiiiii, .Lfunc_end0-_Z9conv3d_s1IfEvPKT_S2_PS0_iiiiiiii
                                        ; -- End function
	.section	.AMDGPU.csdata,"",@progbits
; Kernel info:
; codeLenInByte = 588
; NumSgprs: 27
; NumVgprs: 8
; ScratchSize: 0
; MemoryBound: 0
; FloatMode: 240
; IeeeMode: 1
; LDSByteSize: 0 bytes/workgroup (compile time only)
; SGPRBlocks: 3
; VGPRBlocks: 0
; NumSGPRsForWavesPerEU: 27
; NumVGPRsForWavesPerEU: 8
; Occupancy: 16
; WaveLimiterHint : 0
; COMPUTE_PGM_RSRC2:SCRATCH_EN: 0
; COMPUTE_PGM_RSRC2:USER_SGPR: 13
; COMPUTE_PGM_RSRC2:TRAP_HANDLER: 0
; COMPUTE_PGM_RSRC2:TGID_X_EN: 1
; COMPUTE_PGM_RSRC2:TGID_Y_EN: 1
; COMPUTE_PGM_RSRC2:TGID_Z_EN: 1
; COMPUTE_PGM_RSRC2:TIDIG_COMP_CNT: 1
	.section	.text._Z9conv3d_s2IfEvPKT_S2_PS0_iiiiiiii,"axG",@progbits,_Z9conv3d_s2IfEvPKT_S2_PS0_iiiiiiii,comdat
	.protected	_Z9conv3d_s2IfEvPKT_S2_PS0_iiiiiiii ; -- Begin function _Z9conv3d_s2IfEvPKT_S2_PS0_iiiiiiii
	.globl	_Z9conv3d_s2IfEvPKT_S2_PS0_iiiiiiii
	.p2align	8
	.type	_Z9conv3d_s2IfEvPKT_S2_PS0_iiiiiiii,@function
_Z9conv3d_s2IfEvPKT_S2_PS0_iiiiiiii:    ; @_Z9conv3d_s2IfEvPKT_S2_PS0_iiiiiiii
; %bb.0:
	s_load_b256 s[4:11], s[0:1], 0x18
	v_bfe_u32 v3, v0, 10, 10
	v_and_b32_e32 v2, 0x3ff, v0
	s_waitcnt lgkmcnt(0)
	v_cvt_f32_u32_e32 v1, s11
	s_sub_i32 s3, 0, s11
	s_delay_alu instid0(VALU_DEP_1) | instskip(SKIP_2) | instid1(VALU_DEP_1)
	v_rcp_iflag_f32_e32 v1, v1
	s_waitcnt_depctr 0xfff
	v_mul_f32_e32 v1, 0x4f7ffffe, v1
	v_cvt_u32_f32_e32 v1, v1
	s_delay_alu instid0(VALU_DEP_1) | instskip(NEXT) | instid1(VALU_DEP_1)
	v_readfirstlane_b32 s2, v1
	s_mul_i32 s3, s3, s2
	s_delay_alu instid0(SALU_CYCLE_1) | instskip(NEXT) | instid1(SALU_CYCLE_1)
	s_mul_hi_u32 s3, s2, s3
	s_add_i32 s2, s2, s3
	s_delay_alu instid0(SALU_CYCLE_1) | instskip(NEXT) | instid1(SALU_CYCLE_1)
	s_mul_hi_u32 s2, s14, s2
	s_mul_i32 s3, s2, s11
	s_add_i32 s12, s2, 1
	s_sub_i32 s3, s14, s3
	s_delay_alu instid0(SALU_CYCLE_1)
	s_sub_i32 s16, s3, s11
	s_cmp_ge_u32 s3, s11
	s_cselect_b32 s2, s12, s2
	s_cselect_b32 s3, s16, s3
	s_add_i32 s12, s2, 1
	s_cmp_ge_u32 s3, s11
	s_cselect_b32 s2, s12, s2
	s_delay_alu instid0(SALU_CYCLE_1) | instskip(SKIP_4) | instid1(VALU_DEP_2)
	s_mul_i32 s18, s2, s11
	s_lshl_b32 s3, s2, 4
	s_sub_i32 s2, s14, s18
	v_add_nc_u32_e32 v1, s3, v3
	v_lshl_add_u32 v0, s2, 4, v2
	v_cmp_gt_i32_e32 vcc_lo, s9, v1
	s_delay_alu instid0(VALU_DEP_2) | instskip(NEXT) | instid1(VALU_DEP_1)
	v_cmp_gt_i32_e64 s2, s10, v0
	s_and_b32 s2, vcc_lo, s2
	s_delay_alu instid0(SALU_CYCLE_1)
	s_and_saveexec_b32 s11, s2
	s_cbranch_execz .LBB1_11
; %bb.1:
	s_load_b64 s[16:17], s[0:1], 0x10
	s_cmp_lt_i32 s4, 1
	s_cbranch_scc1 .LBB1_9
; %bb.2:
	s_mul_i32 s2, s15, s7
	s_cmp_gt_i32 s6, 0
	s_mul_i32 s2, s2, s4
	s_cselect_b32 s11, -1, 0
	v_add3_u32 v3, s3, s2, v3
	s_load_b128 s[0:3], s[0:1], 0x0
	s_lshl_b32 s12, s14, 4
	s_lshl_b32 s14, s18, 4
	v_mov_b32_e32 v5, 0
	v_mul_lo_u32 v3, s8, v3
	s_mul_i32 s7, s8, s7
	s_delay_alu instid0(VALU_DEP_1) | instskip(SKIP_1) | instid1(SALU_CYCLE_1)
	v_add3_u32 v2, v2, v3, s12
	s_mul_i32 s12, s6, s6
	s_mul_i32 s18, s13, s12
	s_delay_alu instid0(SALU_CYCLE_1) | instskip(NEXT) | instid1(VALU_DEP_1)
	s_mul_i32 s22, s18, s4
	v_subrev_nc_u32_e32 v6, s14, v2
	s_mov_b32 s14, 0
	s_set_inst_prefetch_distance 0x1
	s_branch .LBB1_4
	.p2align	6
.LBB1_3:                                ;   in Loop: Header=BB1_4 Depth=1
	v_add_nc_u32_e32 v6, s7, v6
	s_add_i32 s14, s14, 1
	s_add_i32 s22, s22, s12
	s_cmp_eq_u32 s14, s4
	s_cbranch_scc1 .LBB1_10
.LBB1_4:                                ; =>This Loop Header: Depth=1
                                        ;     Child Loop BB1_6 Depth 2
                                        ;       Child Loop BB1_7 Depth 3
	s_and_not1_b32 vcc_lo, exec_lo, s11
	s_cbranch_vccnz .LBB1_3
; %bb.5:                                ;   in Loop: Header=BB1_4 Depth=1
	v_mov_b32_e32 v2, v6
	s_mov_b32 s23, 0
	s_mov_b32 s18, s22
	.p2align	6
.LBB1_6:                                ;   Parent Loop BB1_4 Depth=1
                                        ; =>  This Loop Header: Depth=2
                                        ;       Child Loop BB1_7 Depth 3
	s_delay_alu instid0(VALU_DEP_1) | instskip(SKIP_1) | instid1(SALU_CYCLE_1)
	v_ashrrev_i32_e32 v3, 31, v2
	s_ashr_i32 s19, s18, 31
	s_lshl_b64 s[20:21], s[18:19], 2
	s_mov_b32 s19, s6
	s_delay_alu instid0(VALU_DEP_1) | instskip(SKIP_3) | instid1(VALU_DEP_1)
	v_lshlrev_b64 v[3:4], 2, v[2:3]
	s_waitcnt lgkmcnt(0)
	s_add_u32 s20, s2, s20
	s_addc_u32 s21, s3, s21
	v_add_co_u32 v3, vcc_lo, s0, v3
	s_delay_alu instid0(VALU_DEP_2)
	v_add_co_ci_u32_e32 v4, vcc_lo, s1, v4, vcc_lo
.LBB1_7:                                ;   Parent Loop BB1_4 Depth=1
                                        ;     Parent Loop BB1_6 Depth=2
                                        ; =>    This Inner Loop Header: Depth=3
	global_load_b32 v7, v[3:4], off
	s_load_b32 s24, s[20:21], 0x0
	v_add_co_u32 v3, vcc_lo, v3, 4
	s_add_i32 s19, s19, -1
	v_add_co_ci_u32_e32 v4, vcc_lo, 0, v4, vcc_lo
	s_add_u32 s20, s20, 4
	s_addc_u32 s21, s21, 0
	s_cmp_eq_u32 s19, 0
	s_waitcnt vmcnt(0) lgkmcnt(0)
	v_fmac_f32_e32 v5, s24, v7
	s_cbranch_scc0 .LBB1_7
; %bb.8:                                ;   in Loop: Header=BB1_6 Depth=2
	v_add_nc_u32_e32 v2, s8, v2
	s_add_i32 s23, s23, 1
	s_add_i32 s18, s18, s6
	s_cmp_eq_u32 s23, s6
	s_cbranch_scc0 .LBB1_6
	s_branch .LBB1_3
.LBB1_9:
	v_mov_b32_e32 v5, 0
.LBB1_10:
	s_set_inst_prefetch_distance 0x2
	s_waitcnt lgkmcnt(0)
	s_mul_i32 s0, s15, s5
	s_delay_alu instid0(SALU_CYCLE_1) | instskip(NEXT) | instid1(SALU_CYCLE_1)
	s_add_i32 s0, s0, s13
	v_mad_u64_u32 v[2:3], null, s0, s9, v[1:2]
	s_delay_alu instid0(VALU_DEP_1) | instskip(NEXT) | instid1(VALU_DEP_1)
	v_mad_u64_u32 v[3:4], null, v2, s10, v[0:1]
	v_ashrrev_i32_e32 v4, 31, v3
	s_delay_alu instid0(VALU_DEP_1) | instskip(NEXT) | instid1(VALU_DEP_1)
	v_lshlrev_b64 v[0:1], 2, v[3:4]
	v_add_co_u32 v0, vcc_lo, s16, v0
	s_delay_alu instid0(VALU_DEP_2)
	v_add_co_ci_u32_e32 v1, vcc_lo, s17, v1, vcc_lo
	global_store_b32 v[0:1], v5, off
.LBB1_11:
	s_nop 0
	s_sendmsg sendmsg(MSG_DEALLOC_VGPRS)
	s_endpgm
	.section	.rodata,"a",@progbits
	.p2align	6, 0x0
	.amdhsa_kernel _Z9conv3d_s2IfEvPKT_S2_PS0_iiiiiiii
		.amdhsa_group_segment_fixed_size 0
		.amdhsa_private_segment_fixed_size 0
		.amdhsa_kernarg_size 56
		.amdhsa_user_sgpr_count 13
		.amdhsa_user_sgpr_dispatch_ptr 0
		.amdhsa_user_sgpr_queue_ptr 0
		.amdhsa_user_sgpr_kernarg_segment_ptr 1
		.amdhsa_user_sgpr_dispatch_id 0
		.amdhsa_user_sgpr_private_segment_size 0
		.amdhsa_wavefront_size32 1
		.amdhsa_uses_dynamic_stack 0
		.amdhsa_enable_private_segment 0
		.amdhsa_system_sgpr_workgroup_id_x 1
		.amdhsa_system_sgpr_workgroup_id_y 1
		.amdhsa_system_sgpr_workgroup_id_z 1
		.amdhsa_system_sgpr_workgroup_info 0
		.amdhsa_system_vgpr_workitem_id 1
		.amdhsa_next_free_vgpr 8
		.amdhsa_next_free_sgpr 25
		.amdhsa_reserve_vcc 1
		.amdhsa_float_round_mode_32 0
		.amdhsa_float_round_mode_16_64 0
		.amdhsa_float_denorm_mode_32 3
		.amdhsa_float_denorm_mode_16_64 3
		.amdhsa_dx10_clamp 1
		.amdhsa_ieee_mode 1
		.amdhsa_fp16_overflow 0
		.amdhsa_workgroup_processor_mode 1
		.amdhsa_memory_ordered 1
		.amdhsa_forward_progress 0
		.amdhsa_shared_vgpr_count 0
		.amdhsa_exception_fp_ieee_invalid_op 0
		.amdhsa_exception_fp_denorm_src 0
		.amdhsa_exception_fp_ieee_div_zero 0
		.amdhsa_exception_fp_ieee_overflow 0
		.amdhsa_exception_fp_ieee_underflow 0
		.amdhsa_exception_fp_ieee_inexact 0
		.amdhsa_exception_int_div_zero 0
	.end_amdhsa_kernel
	.section	.text._Z9conv3d_s2IfEvPKT_S2_PS0_iiiiiiii,"axG",@progbits,_Z9conv3d_s2IfEvPKT_S2_PS0_iiiiiiii,comdat
.Lfunc_end1:
	.size	_Z9conv3d_s2IfEvPKT_S2_PS0_iiiiiiii, .Lfunc_end1-_Z9conv3d_s2IfEvPKT_S2_PS0_iiiiiiii
                                        ; -- End function
	.section	.AMDGPU.csdata,"",@progbits
; Kernel info:
; codeLenInByte = 588
; NumSgprs: 27
; NumVgprs: 8
; ScratchSize: 0
; MemoryBound: 0
; FloatMode: 240
; IeeeMode: 1
; LDSByteSize: 0 bytes/workgroup (compile time only)
; SGPRBlocks: 3
; VGPRBlocks: 0
; NumSGPRsForWavesPerEU: 27
; NumVGPRsForWavesPerEU: 8
; Occupancy: 16
; WaveLimiterHint : 0
; COMPUTE_PGM_RSRC2:SCRATCH_EN: 0
; COMPUTE_PGM_RSRC2:USER_SGPR: 13
; COMPUTE_PGM_RSRC2:TRAP_HANDLER: 0
; COMPUTE_PGM_RSRC2:TGID_X_EN: 1
; COMPUTE_PGM_RSRC2:TGID_Y_EN: 1
; COMPUTE_PGM_RSRC2:TGID_Z_EN: 1
; COMPUTE_PGM_RSRC2:TIDIG_COMP_CNT: 1
	.section	.text._Z9conv3d_s3IfEvPKT_S2_PS0_iiiiiiii,"axG",@progbits,_Z9conv3d_s3IfEvPKT_S2_PS0_iiiiiiii,comdat
	.protected	_Z9conv3d_s3IfEvPKT_S2_PS0_iiiiiiii ; -- Begin function _Z9conv3d_s3IfEvPKT_S2_PS0_iiiiiiii
	.globl	_Z9conv3d_s3IfEvPKT_S2_PS0_iiiiiiii
	.p2align	8
	.type	_Z9conv3d_s3IfEvPKT_S2_PS0_iiiiiiii,@function
_Z9conv3d_s3IfEvPKT_S2_PS0_iiiiiiii:    ; @_Z9conv3d_s3IfEvPKT_S2_PS0_iiiiiiii
; %bb.0:
	s_load_b256 s[4:11], s[0:1], 0x18
	v_bfe_u32 v3, v0, 10, 10
	v_and_b32_e32 v2, 0x3ff, v0
	s_waitcnt lgkmcnt(0)
	v_cvt_f32_u32_e32 v1, s11
	s_sub_i32 s3, 0, s11
	s_delay_alu instid0(VALU_DEP_1) | instskip(SKIP_2) | instid1(VALU_DEP_1)
	v_rcp_iflag_f32_e32 v1, v1
	s_waitcnt_depctr 0xfff
	v_mul_f32_e32 v1, 0x4f7ffffe, v1
	v_cvt_u32_f32_e32 v1, v1
	s_delay_alu instid0(VALU_DEP_1) | instskip(NEXT) | instid1(VALU_DEP_1)
	v_readfirstlane_b32 s2, v1
	s_mul_i32 s3, s3, s2
	s_delay_alu instid0(SALU_CYCLE_1) | instskip(NEXT) | instid1(SALU_CYCLE_1)
	s_mul_hi_u32 s3, s2, s3
	s_add_i32 s2, s2, s3
	s_delay_alu instid0(SALU_CYCLE_1) | instskip(NEXT) | instid1(SALU_CYCLE_1)
	s_mul_hi_u32 s2, s13, s2
	s_mul_i32 s3, s2, s11
	s_add_i32 s12, s2, 1
	s_sub_i32 s3, s13, s3
	s_delay_alu instid0(SALU_CYCLE_1)
	s_sub_i32 s16, s3, s11
	s_cmp_ge_u32 s3, s11
	s_cselect_b32 s2, s12, s2
	s_cselect_b32 s3, s16, s3
	s_add_i32 s12, s2, 1
	s_cmp_ge_u32 s3, s11
	s_cselect_b32 s2, s12, s2
	s_delay_alu instid0(SALU_CYCLE_1) | instskip(SKIP_4) | instid1(VALU_DEP_2)
	s_mul_i32 s12, s2, s11
	s_lshl_b32 s3, s2, 4
	s_sub_i32 s2, s13, s12
	v_add_nc_u32_e32 v1, s3, v3
	v_lshl_add_u32 v0, s2, 4, v2
	v_cmp_gt_i32_e32 vcc_lo, s9, v1
	s_delay_alu instid0(VALU_DEP_2) | instskip(NEXT) | instid1(VALU_DEP_1)
	v_cmp_gt_i32_e64 s2, s10, v0
	s_and_b32 s2, vcc_lo, s2
	s_delay_alu instid0(SALU_CYCLE_1)
	s_and_saveexec_b32 s11, s2
	s_cbranch_execz .LBB2_11
; %bb.1:
	s_load_b64 s[16:17], s[0:1], 0x10
	s_cmp_lt_i32 s4, 1
	s_cbranch_scc1 .LBB2_9
; %bb.2:
	s_mul_i32 s2, s14, s7
	s_cmp_gt_i32 s6, 0
	s_mul_i32 s2, s2, s4
	s_cselect_b32 s11, -1, 0
	v_add3_u32 v3, s3, s2, v3
	s_load_b128 s[0:3], s[0:1], 0x0
	s_lshl_b32 s13, s13, 4
	s_lshl_b32 s12, s12, 4
	s_mul_i32 s20, s6, s6
	v_mul_lo_u32 v3, s8, v3
	v_mov_b32_e32 v5, 0
	s_mov_b32 s21, 0
	s_mul_i32 s7, s8, s7
	s_delay_alu instid0(VALU_DEP_2) | instskip(SKIP_1) | instid1(SALU_CYCLE_1)
	v_add3_u32 v2, v2, v3, s13
	s_mul_i32 s13, s15, s20
	s_mul_i32 s22, s13, s4
	s_delay_alu instid0(VALU_DEP_1)
	v_subrev_nc_u32_e32 v6, s12, v2
	s_set_inst_prefetch_distance 0x1
	s_branch .LBB2_4
	.p2align	6
.LBB2_3:                                ;   in Loop: Header=BB2_4 Depth=1
	v_add_nc_u32_e32 v6, s7, v6
	s_add_i32 s21, s21, 1
	s_add_i32 s22, s22, s20
	s_cmp_eq_u32 s21, s4
	s_cbranch_scc1 .LBB2_10
.LBB2_4:                                ; =>This Loop Header: Depth=1
                                        ;     Child Loop BB2_6 Depth 2
                                        ;       Child Loop BB2_7 Depth 3
	s_and_not1_b32 vcc_lo, exec_lo, s11
	s_cbranch_vccnz .LBB2_3
; %bb.5:                                ;   in Loop: Header=BB2_4 Depth=1
	v_mov_b32_e32 v2, v6
	s_mov_b32 s23, 0
	s_mov_b32 s12, s22
	.p2align	6
.LBB2_6:                                ;   Parent Loop BB2_4 Depth=1
                                        ; =>  This Loop Header: Depth=2
                                        ;       Child Loop BB2_7 Depth 3
	s_delay_alu instid0(VALU_DEP_1) | instskip(SKIP_1) | instid1(SALU_CYCLE_1)
	v_ashrrev_i32_e32 v3, 31, v2
	s_ashr_i32 s13, s12, 31
	s_lshl_b64 s[18:19], s[12:13], 2
	s_mov_b32 s13, s6
	s_delay_alu instid0(VALU_DEP_1) | instskip(SKIP_3) | instid1(VALU_DEP_1)
	v_lshlrev_b64 v[3:4], 2, v[2:3]
	s_waitcnt lgkmcnt(0)
	s_add_u32 s18, s2, s18
	s_addc_u32 s19, s3, s19
	v_add_co_u32 v3, vcc_lo, s0, v3
	s_delay_alu instid0(VALU_DEP_2)
	v_add_co_ci_u32_e32 v4, vcc_lo, s1, v4, vcc_lo
.LBB2_7:                                ;   Parent Loop BB2_4 Depth=1
                                        ;     Parent Loop BB2_6 Depth=2
                                        ; =>    This Inner Loop Header: Depth=3
	global_load_b32 v7, v[3:4], off
	s_load_b32 s24, s[18:19], 0x0
	v_add_co_u32 v3, vcc_lo, v3, 4
	s_add_i32 s13, s13, -1
	v_add_co_ci_u32_e32 v4, vcc_lo, 0, v4, vcc_lo
	s_add_u32 s18, s18, 4
	s_addc_u32 s19, s19, 0
	s_cmp_eq_u32 s13, 0
	s_waitcnt vmcnt(0) lgkmcnt(0)
	v_fmac_f32_e32 v5, s24, v7
	s_cbranch_scc0 .LBB2_7
; %bb.8:                                ;   in Loop: Header=BB2_6 Depth=2
	v_add_nc_u32_e32 v2, s8, v2
	s_add_i32 s23, s23, 1
	s_add_i32 s12, s12, s6
	s_cmp_eq_u32 s23, s6
	s_cbranch_scc0 .LBB2_6
	s_branch .LBB2_3
.LBB2_9:
	v_mov_b32_e32 v5, 0
.LBB2_10:
	s_set_inst_prefetch_distance 0x2
	s_waitcnt lgkmcnt(0)
	s_mul_i32 s0, s14, s5
	s_delay_alu instid0(SALU_CYCLE_1) | instskip(NEXT) | instid1(SALU_CYCLE_1)
	s_add_i32 s0, s0, s15
	v_mad_u64_u32 v[2:3], null, s0, s9, v[1:2]
	s_delay_alu instid0(VALU_DEP_1) | instskip(NEXT) | instid1(VALU_DEP_1)
	v_mad_u64_u32 v[3:4], null, v2, s10, v[0:1]
	v_ashrrev_i32_e32 v4, 31, v3
	s_delay_alu instid0(VALU_DEP_1) | instskip(NEXT) | instid1(VALU_DEP_1)
	v_lshlrev_b64 v[0:1], 2, v[3:4]
	v_add_co_u32 v0, vcc_lo, s16, v0
	s_delay_alu instid0(VALU_DEP_2)
	v_add_co_ci_u32_e32 v1, vcc_lo, s17, v1, vcc_lo
	global_store_b32 v[0:1], v5, off
.LBB2_11:
	s_nop 0
	s_sendmsg sendmsg(MSG_DEALLOC_VGPRS)
	s_endpgm
	.section	.rodata,"a",@progbits
	.p2align	6, 0x0
	.amdhsa_kernel _Z9conv3d_s3IfEvPKT_S2_PS0_iiiiiiii
		.amdhsa_group_segment_fixed_size 0
		.amdhsa_private_segment_fixed_size 0
		.amdhsa_kernarg_size 56
		.amdhsa_user_sgpr_count 13
		.amdhsa_user_sgpr_dispatch_ptr 0
		.amdhsa_user_sgpr_queue_ptr 0
		.amdhsa_user_sgpr_kernarg_segment_ptr 1
		.amdhsa_user_sgpr_dispatch_id 0
		.amdhsa_user_sgpr_private_segment_size 0
		.amdhsa_wavefront_size32 1
		.amdhsa_uses_dynamic_stack 0
		.amdhsa_enable_private_segment 0
		.amdhsa_system_sgpr_workgroup_id_x 1
		.amdhsa_system_sgpr_workgroup_id_y 1
		.amdhsa_system_sgpr_workgroup_id_z 1
		.amdhsa_system_sgpr_workgroup_info 0
		.amdhsa_system_vgpr_workitem_id 1
		.amdhsa_next_free_vgpr 8
		.amdhsa_next_free_sgpr 25
		.amdhsa_reserve_vcc 1
		.amdhsa_float_round_mode_32 0
		.amdhsa_float_round_mode_16_64 0
		.amdhsa_float_denorm_mode_32 3
		.amdhsa_float_denorm_mode_16_64 3
		.amdhsa_dx10_clamp 1
		.amdhsa_ieee_mode 1
		.amdhsa_fp16_overflow 0
		.amdhsa_workgroup_processor_mode 1
		.amdhsa_memory_ordered 1
		.amdhsa_forward_progress 0
		.amdhsa_shared_vgpr_count 0
		.amdhsa_exception_fp_ieee_invalid_op 0
		.amdhsa_exception_fp_denorm_src 0
		.amdhsa_exception_fp_ieee_div_zero 0
		.amdhsa_exception_fp_ieee_overflow 0
		.amdhsa_exception_fp_ieee_underflow 0
		.amdhsa_exception_fp_ieee_inexact 0
		.amdhsa_exception_int_div_zero 0
	.end_amdhsa_kernel
	.section	.text._Z9conv3d_s3IfEvPKT_S2_PS0_iiiiiiii,"axG",@progbits,_Z9conv3d_s3IfEvPKT_S2_PS0_iiiiiiii,comdat
.Lfunc_end2:
	.size	_Z9conv3d_s3IfEvPKT_S2_PS0_iiiiiiii, .Lfunc_end2-_Z9conv3d_s3IfEvPKT_S2_PS0_iiiiiiii
                                        ; -- End function
	.section	.AMDGPU.csdata,"",@progbits
; Kernel info:
; codeLenInByte = 588
; NumSgprs: 27
; NumVgprs: 8
; ScratchSize: 0
; MemoryBound: 0
; FloatMode: 240
; IeeeMode: 1
; LDSByteSize: 0 bytes/workgroup (compile time only)
; SGPRBlocks: 3
; VGPRBlocks: 0
; NumSGPRsForWavesPerEU: 27
; NumVGPRsForWavesPerEU: 8
; Occupancy: 16
; WaveLimiterHint : 0
; COMPUTE_PGM_RSRC2:SCRATCH_EN: 0
; COMPUTE_PGM_RSRC2:USER_SGPR: 13
; COMPUTE_PGM_RSRC2:TRAP_HANDLER: 0
; COMPUTE_PGM_RSRC2:TGID_X_EN: 1
; COMPUTE_PGM_RSRC2:TGID_Y_EN: 1
; COMPUTE_PGM_RSRC2:TGID_Z_EN: 1
; COMPUTE_PGM_RSRC2:TIDIG_COMP_CNT: 1
	.text
	.p2alignl 7, 3214868480
	.fill 96, 4, 3214868480
	.type	__hip_cuid_5d4cca602ecf4f7e,@object ; @__hip_cuid_5d4cca602ecf4f7e
	.section	.bss,"aw",@nobits
	.globl	__hip_cuid_5d4cca602ecf4f7e
__hip_cuid_5d4cca602ecf4f7e:
	.byte	0                               ; 0x0
	.size	__hip_cuid_5d4cca602ecf4f7e, 1

	.ident	"AMD clang version 19.0.0git (https://github.com/RadeonOpenCompute/llvm-project roc-6.4.0 25133 c7fe45cf4b819c5991fe208aaa96edf142730f1d)"
	.section	".note.GNU-stack","",@progbits
	.addrsig
	.addrsig_sym __hip_cuid_5d4cca602ecf4f7e
	.amdgpu_metadata
---
amdhsa.kernels:
  - .args:
      - .actual_access:  read_only
        .address_space:  global
        .offset:         0
        .size:           8
        .value_kind:     global_buffer
      - .actual_access:  read_only
        .address_space:  global
        .offset:         8
        .size:           8
        .value_kind:     global_buffer
      - .actual_access:  write_only
        .address_space:  global
        .offset:         16
        .size:           8
        .value_kind:     global_buffer
      - .offset:         24
        .size:           4
        .value_kind:     by_value
      - .offset:         28
        .size:           4
        .value_kind:     by_value
      - .offset:         32
        .size:           4
        .value_kind:     by_value
      - .offset:         36
        .size:           4
        .value_kind:     by_value
      - .offset:         40
        .size:           4
        .value_kind:     by_value
      - .offset:         44
        .size:           4
        .value_kind:     by_value
      - .offset:         48
        .size:           4
        .value_kind:     by_value
      - .offset:         52
        .size:           4
        .value_kind:     by_value
    .group_segment_fixed_size: 0
    .kernarg_segment_align: 8
    .kernarg_segment_size: 56
    .language:       OpenCL C
    .language_version:
      - 2
      - 0
    .max_flat_workgroup_size: 1024
    .name:           _Z9conv3d_s1IfEvPKT_S2_PS0_iiiiiiii
    .private_segment_fixed_size: 0
    .sgpr_count:     27
    .sgpr_spill_count: 0
    .symbol:         _Z9conv3d_s1IfEvPKT_S2_PS0_iiiiiiii.kd
    .uniform_work_group_size: 1
    .uses_dynamic_stack: false
    .vgpr_count:     8
    .vgpr_spill_count: 0
    .wavefront_size: 32
    .workgroup_processor_mode: 1
  - .args:
      - .actual_access:  read_only
        .address_space:  global
        .offset:         0
        .size:           8
        .value_kind:     global_buffer
      - .actual_access:  read_only
        .address_space:  global
        .offset:         8
        .size:           8
        .value_kind:     global_buffer
      - .actual_access:  write_only
        .address_space:  global
        .offset:         16
        .size:           8
        .value_kind:     global_buffer
      - .offset:         24
        .size:           4
        .value_kind:     by_value
      - .offset:         28
        .size:           4
        .value_kind:     by_value
      - .offset:         32
        .size:           4
        .value_kind:     by_value
      - .offset:         36
        .size:           4
        .value_kind:     by_value
      - .offset:         40
        .size:           4
        .value_kind:     by_value
      - .offset:         44
        .size:           4
        .value_kind:     by_value
      - .offset:         48
        .size:           4
        .value_kind:     by_value
      - .offset:         52
        .size:           4
        .value_kind:     by_value
    .group_segment_fixed_size: 0
    .kernarg_segment_align: 8
    .kernarg_segment_size: 56
    .language:       OpenCL C
    .language_version:
      - 2
      - 0
    .max_flat_workgroup_size: 1024
    .name:           _Z9conv3d_s2IfEvPKT_S2_PS0_iiiiiiii
    .private_segment_fixed_size: 0
    .sgpr_count:     27
    .sgpr_spill_count: 0
    .symbol:         _Z9conv3d_s2IfEvPKT_S2_PS0_iiiiiiii.kd
    .uniform_work_group_size: 1
    .uses_dynamic_stack: false
    .vgpr_count:     8
    .vgpr_spill_count: 0
    .wavefront_size: 32
    .workgroup_processor_mode: 1
  - .args:
      - .actual_access:  read_only
        .address_space:  global
        .offset:         0
        .size:           8
        .value_kind:     global_buffer
      - .actual_access:  read_only
        .address_space:  global
        .offset:         8
        .size:           8
        .value_kind:     global_buffer
      - .actual_access:  write_only
        .address_space:  global
        .offset:         16
        .size:           8
        .value_kind:     global_buffer
      - .offset:         24
        .size:           4
        .value_kind:     by_value
      - .offset:         28
        .size:           4
        .value_kind:     by_value
      - .offset:         32
        .size:           4
        .value_kind:     by_value
      - .offset:         36
        .size:           4
        .value_kind:     by_value
      - .offset:         40
        .size:           4
        .value_kind:     by_value
      - .offset:         44
        .size:           4
        .value_kind:     by_value
      - .offset:         48
        .size:           4
        .value_kind:     by_value
      - .offset:         52
        .size:           4
        .value_kind:     by_value
    .group_segment_fixed_size: 0
    .kernarg_segment_align: 8
    .kernarg_segment_size: 56
    .language:       OpenCL C
    .language_version:
      - 2
      - 0
    .max_flat_workgroup_size: 1024
    .name:           _Z9conv3d_s3IfEvPKT_S2_PS0_iiiiiiii
    .private_segment_fixed_size: 0
    .sgpr_count:     27
    .sgpr_spill_count: 0
    .symbol:         _Z9conv3d_s3IfEvPKT_S2_PS0_iiiiiiii.kd
    .uniform_work_group_size: 1
    .uses_dynamic_stack: false
    .vgpr_count:     8
    .vgpr_spill_count: 0
    .wavefront_size: 32
    .workgroup_processor_mode: 1
amdhsa.target:   amdgcn-amd-amdhsa--gfx1100
amdhsa.version:
  - 1
  - 2
...

	.end_amdgpu_metadata
